;; amdgpu-corpus repo=ROCm/rocFFT kind=compiled arch=gfx906 opt=O3
	.text
	.amdgcn_target "amdgcn-amd-amdhsa--gfx906"
	.amdhsa_code_object_version 6
	.protected	fft_rtc_fwd_len112_factors_4_7_4_wgs_448_tpt_28_dp_ip_CI_sbcc_twdbase8_2step ; -- Begin function fft_rtc_fwd_len112_factors_4_7_4_wgs_448_tpt_28_dp_ip_CI_sbcc_twdbase8_2step
	.globl	fft_rtc_fwd_len112_factors_4_7_4_wgs_448_tpt_28_dp_ip_CI_sbcc_twdbase8_2step
	.p2align	8
	.type	fft_rtc_fwd_len112_factors_4_7_4_wgs_448_tpt_28_dp_ip_CI_sbcc_twdbase8_2step,@function
fft_rtc_fwd_len112_factors_4_7_4_wgs_448_tpt_28_dp_ip_CI_sbcc_twdbase8_2step: ; @fft_rtc_fwd_len112_factors_4_7_4_wgs_448_tpt_28_dp_ip_CI_sbcc_twdbase8_2step
; %bb.0:
	s_load_dwordx4 s[0:3], s[4:5], 0x18
	s_mov_b32 s7, 0
	s_mov_b64 s[24:25], 0
	s_waitcnt lgkmcnt(0)
	s_load_dwordx2 s[20:21], s[0:1], 0x8
	s_waitcnt lgkmcnt(0)
	s_add_u32 s8, s20, -1
	s_addc_u32 s9, s21, -1
	s_lshr_b64 s[8:9], s[8:9], 4
	s_add_u32 s22, s8, 1
	s_addc_u32 s23, s9, 0
	v_mov_b32_e32 v1, s22
	v_mov_b32_e32 v2, s23
	v_cmp_lt_u64_e32 vcc, s[6:7], v[1:2]
	s_cbranch_vccnz .LBB0_2
; %bb.1:
	v_cvt_f32_u32_e32 v1, s22
	s_sub_i32 s8, 0, s22
	s_mov_b32 s25, s7
	v_rcp_iflag_f32_e32 v1, v1
	v_mul_f32_e32 v1, 0x4f7ffffe, v1
	v_cvt_u32_f32_e32 v1, v1
	v_readfirstlane_b32 s9, v1
	s_mul_i32 s8, s8, s9
	s_mul_hi_u32 s8, s9, s8
	s_add_i32 s9, s9, s8
	s_mul_hi_u32 s8, s6, s9
	s_mul_i32 s10, s8, s22
	s_sub_i32 s10, s6, s10
	s_add_i32 s9, s8, 1
	s_sub_i32 s11, s10, s22
	s_cmp_ge_u32 s10, s22
	s_cselect_b32 s8, s9, s8
	s_cselect_b32 s10, s11, s10
	s_add_i32 s9, s8, 1
	s_cmp_ge_u32 s10, s22
	s_cselect_b32 s24, s9, s8
.LBB0_2:
	s_load_dwordx2 s[16:17], s[4:5], 0x58
	s_load_dwordx4 s[8:11], s[2:3], 0x0
	s_mul_i32 s12, s24, s23
	s_mul_hi_u32 s13, s24, s22
	s_add_i32 s13, s13, s12
	s_mul_i32 s12, s24, s22
	s_sub_u32 s26, s6, s12
	s_subb_u32 s27, 0, s13
	v_mov_b32_e32 v1, s26
	v_alignbit_b32 v1, s27, v1, 28
	s_waitcnt lgkmcnt(0)
	v_mul_lo_u32 v1, s10, v1
	s_load_dwordx2 s[18:19], s[4:5], 0x0
	s_load_dwordx4 s[12:15], s[4:5], 0x8
	s_lshl_b64 s[4:5], s[26:27], 4
	s_mul_hi_u32 s26, s10, s4
	v_add_u32_e32 v1, s26, v1
	s_mul_i32 s26, s11, s4
	v_add_u32_e32 v3, s26, v1
	s_waitcnt lgkmcnt(0)
	v_cmp_lt_u64_e64 s[26:27], s[14:15], 3
	s_mul_i32 s28, s10, s4
	v_mov_b32_e32 v4, s28
	s_and_b64 vcc, exec, s[26:27]
	s_cbranch_vccnz .LBB0_11
; %bb.3:
	s_add_u32 s26, s2, 16
	s_addc_u32 s27, s3, 0
	s_add_u32 s28, s0, 16
	v_mov_b32_e32 v1, s14
	s_addc_u32 s29, s1, 0
	s_mov_b64 s[30:31], 2
	s_mov_b32 s34, 0
	v_mov_b32_e32 v2, s15
	s_branch .LBB0_5
.LBB0_4:                                ;   in Loop: Header=BB0_5 Depth=1
	s_mul_i32 s23, s36, s23
	s_mul_hi_u32 s33, s36, s22
	s_add_i32 s23, s33, s23
	s_mul_i32 s33, s37, s22
	s_add_i32 s23, s23, s33
	s_mul_i32 s33, s0, s37
	s_mul_hi_u32 s35, s0, s36
	s_load_dwordx2 s[38:39], s[26:27], 0x0
	s_add_i32 s33, s35, s33
	s_mul_i32 s35, s1, s36
	s_add_i32 s33, s33, s35
	s_mul_i32 s35, s0, s36
	s_sub_u32 s24, s24, s35
	s_subb_u32 s25, s25, s33
	s_waitcnt lgkmcnt(0)
	s_mul_i32 s25, s38, s25
	s_mul_hi_u32 s33, s38, s24
	s_add_i32 s25, s33, s25
	s_mul_i32 s33, s39, s24
	s_add_i32 s25, s25, s33
	s_mul_i32 s24, s38, s24
	s_add_u32 s30, s30, 1
	v_mov_b32_e32 v5, s25
	v_add_co_u32_e32 v4, vcc, s24, v4
	s_addc_u32 s31, s31, 0
	v_addc_co_u32_e32 v3, vcc, v5, v3, vcc
	s_add_u32 s26, s26, 8
	s_addc_u32 s27, s27, 0
	v_cmp_ge_u64_e32 vcc, s[30:31], v[1:2]
	s_add_u32 s28, s28, 8
	s_mul_i32 s22, s36, s22
	s_addc_u32 s29, s29, 0
	s_mov_b64 s[24:25], s[0:1]
	s_cbranch_vccnz .LBB0_9
.LBB0_5:                                ; =>This Inner Loop Header: Depth=1
	s_load_dwordx2 s[36:37], s[28:29], 0x0
	s_waitcnt lgkmcnt(0)
	s_or_b64 s[0:1], s[24:25], s[36:37]
	s_mov_b32 s35, s1
	s_cmp_lg_u64 s[34:35], 0
	s_cbranch_scc0 .LBB0_7
; %bb.6:                                ;   in Loop: Header=BB0_5 Depth=1
	v_cvt_f32_u32_e32 v5, s36
	v_cvt_f32_u32_e32 v6, s37
	s_sub_u32 s0, 0, s36
	s_subb_u32 s1, 0, s37
	v_mac_f32_e32 v5, 0x4f800000, v6
	v_rcp_f32_e32 v5, v5
	v_mul_f32_e32 v5, 0x5f7ffffc, v5
	v_mul_f32_e32 v6, 0x2f800000, v5
	v_trunc_f32_e32 v6, v6
	v_mac_f32_e32 v5, 0xcf800000, v6
	v_cvt_u32_f32_e32 v6, v6
	v_cvt_u32_f32_e32 v5, v5
	v_readfirstlane_b32 s33, v6
	v_readfirstlane_b32 s35, v5
	s_mul_i32 s38, s0, s33
	s_mul_hi_u32 s40, s0, s35
	s_mul_i32 s39, s1, s35
	s_add_i32 s38, s40, s38
	s_mul_i32 s41, s0, s35
	s_add_i32 s38, s38, s39
	s_mul_hi_u32 s39, s35, s38
	s_mul_i32 s40, s35, s38
	s_mul_hi_u32 s35, s35, s41
	s_add_u32 s35, s35, s40
	s_addc_u32 s39, 0, s39
	s_mul_hi_u32 s42, s33, s41
	s_mul_i32 s41, s33, s41
	s_add_u32 s35, s35, s41
	s_mul_hi_u32 s40, s33, s38
	s_addc_u32 s35, s39, s42
	s_addc_u32 s39, s40, 0
	s_mul_i32 s38, s33, s38
	s_add_u32 s35, s35, s38
	s_addc_u32 s38, 0, s39
	v_add_co_u32_e32 v5, vcc, s35, v5
	s_cmp_lg_u64 vcc, 0
	s_addc_u32 s33, s33, s38
	v_readfirstlane_b32 s38, v5
	s_mul_i32 s35, s0, s33
	s_mul_hi_u32 s39, s0, s38
	s_add_i32 s35, s39, s35
	s_mul_i32 s1, s1, s38
	s_add_i32 s35, s35, s1
	s_mul_i32 s0, s0, s38
	s_mul_hi_u32 s39, s33, s0
	s_mul_i32 s40, s33, s0
	s_mul_i32 s42, s38, s35
	s_mul_hi_u32 s0, s38, s0
	s_mul_hi_u32 s41, s38, s35
	s_add_u32 s0, s0, s42
	s_addc_u32 s38, 0, s41
	s_add_u32 s0, s0, s40
	s_mul_hi_u32 s1, s33, s35
	s_addc_u32 s0, s38, s39
	s_addc_u32 s1, s1, 0
	s_mul_i32 s35, s33, s35
	s_add_u32 s0, s0, s35
	s_addc_u32 s1, 0, s1
	v_add_co_u32_e32 v5, vcc, s0, v5
	s_cmp_lg_u64 vcc, 0
	s_addc_u32 s0, s33, s1
	v_readfirstlane_b32 s35, v5
	s_mul_i32 s33, s24, s0
	s_mul_hi_u32 s38, s24, s35
	s_mul_hi_u32 s1, s24, s0
	s_add_u32 s33, s38, s33
	s_addc_u32 s1, 0, s1
	s_mul_hi_u32 s39, s25, s35
	s_mul_i32 s35, s25, s35
	s_add_u32 s33, s33, s35
	s_mul_hi_u32 s38, s25, s0
	s_addc_u32 s1, s1, s39
	s_addc_u32 s33, s38, 0
	s_mul_i32 s0, s25, s0
	s_add_u32 s35, s1, s0
	s_addc_u32 s33, 0, s33
	s_mul_i32 s0, s36, s33
	s_mul_hi_u32 s1, s36, s35
	s_add_i32 s0, s1, s0
	s_mul_i32 s1, s37, s35
	s_add_i32 s38, s0, s1
	s_mul_i32 s1, s36, s35
	v_mov_b32_e32 v5, s1
	s_sub_i32 s0, s25, s38
	v_sub_co_u32_e32 v5, vcc, s24, v5
	s_cmp_lg_u64 vcc, 0
	s_subb_u32 s39, s0, s37
	v_subrev_co_u32_e64 v6, s[0:1], s36, v5
	s_cmp_lg_u64 s[0:1], 0
	s_subb_u32 s0, s39, 0
	s_cmp_ge_u32 s0, s37
	v_readfirstlane_b32 s39, v6
	s_cselect_b32 s1, -1, 0
	s_cmp_ge_u32 s39, s36
	s_cselect_b32 s39, -1, 0
	s_cmp_eq_u32 s0, s37
	s_cselect_b32 s0, s39, s1
	s_add_u32 s1, s35, 1
	s_addc_u32 s39, s33, 0
	s_add_u32 s40, s35, 2
	s_addc_u32 s41, s33, 0
	s_cmp_lg_u32 s0, 0
	s_cselect_b32 s0, s40, s1
	s_cselect_b32 s1, s41, s39
	s_cmp_lg_u64 vcc, 0
	s_subb_u32 s38, s25, s38
	s_cmp_ge_u32 s38, s37
	v_readfirstlane_b32 s40, v5
	s_cselect_b32 s39, -1, 0
	s_cmp_ge_u32 s40, s36
	s_cselect_b32 s40, -1, 0
	s_cmp_eq_u32 s38, s37
	s_cselect_b32 s38, s40, s39
	s_cmp_lg_u32 s38, 0
	s_cselect_b32 s1, s1, s33
	s_cselect_b32 s0, s0, s35
	s_cbranch_execnz .LBB0_4
	s_branch .LBB0_8
.LBB0_7:                                ;   in Loop: Header=BB0_5 Depth=1
                                        ; implicit-def: $sgpr0_sgpr1
.LBB0_8:                                ;   in Loop: Header=BB0_5 Depth=1
	v_cvt_f32_u32_e32 v5, s36
	s_sub_i32 s0, 0, s36
	v_rcp_iflag_f32_e32 v5, v5
	v_mul_f32_e32 v5, 0x4f7ffffe, v5
	v_cvt_u32_f32_e32 v5, v5
	v_readfirstlane_b32 s1, v5
	s_mul_i32 s0, s0, s1
	s_mul_hi_u32 s0, s1, s0
	s_add_i32 s1, s1, s0
	s_mul_hi_u32 s0, s24, s1
	s_mul_i32 s33, s0, s36
	s_sub_i32 s33, s24, s33
	s_add_i32 s1, s0, 1
	s_sub_i32 s35, s33, s36
	s_cmp_ge_u32 s33, s36
	s_cselect_b32 s0, s1, s0
	s_cselect_b32 s33, s35, s33
	s_add_i32 s1, s0, 1
	s_cmp_ge_u32 s33, s36
	s_cselect_b32 s0, s1, s0
	s_mov_b32 s1, s34
	s_branch .LBB0_4
.LBB0_9:
	v_mov_b32_e32 v1, s22
	v_mov_b32_e32 v2, s23
	v_cmp_lt_u64_e32 vcc, s[6:7], v[1:2]
	s_mov_b64 s[24:25], 0
	s_cbranch_vccnz .LBB0_11
; %bb.10:
	v_cvt_f32_u32_e32 v1, s22
	s_sub_i32 s0, 0, s22
	v_rcp_iflag_f32_e32 v1, v1
	v_mul_f32_e32 v1, 0x4f7ffffe, v1
	v_cvt_u32_f32_e32 v1, v1
	v_readfirstlane_b32 s1, v1
	s_mul_i32 s0, s0, s1
	s_mul_hi_u32 s0, s1, s0
	s_add_i32 s1, s1, s0
	s_mul_hi_u32 s0, s6, s1
	s_mul_i32 s7, s0, s22
	s_sub_i32 s6, s6, s7
	s_add_i32 s1, s0, 1
	s_sub_i32 s7, s6, s22
	s_cmp_ge_u32 s6, s22
	s_cselect_b32 s0, s1, s0
	s_cselect_b32 s6, s7, s6
	s_add_i32 s1, s0, 1
	s_cmp_ge_u32 s6, s22
	s_cselect_b32 s24, s1, s0
.LBB0_11:
	s_lshl_b64 s[0:1], s[14:15], 3
	s_add_u32 s0, s2, s0
	s_addc_u32 s1, s3, s1
	s_load_dwordx2 s[0:1], s[0:1], 0x0
	v_and_b32_e32 v33, 15, v0
	v_lshrrev_b32_e32 v30, 4, v0
	v_lshlrev_b32_e32 v34, 4, v30
	v_add_u32_e32 v32, 28, v30
	s_waitcnt lgkmcnt(0)
	s_mul_i32 s1, s1, s24
	s_mul_hi_u32 s2, s0, s24
	s_mul_i32 s0, s0, s24
	s_add_i32 s1, s2, s1
	v_mov_b32_e32 v2, s1
	v_add_co_u32_e32 v1, vcc, s0, v4
	v_addc_co_u32_e32 v2, vcc, v2, v3, vcc
	s_add_u32 s0, s4, 16
	v_mov_b32_e32 v3, s20
	s_addc_u32 s1, s5, 0
	v_mov_b32_e32 v4, s21
	v_cmp_le_u64_e32 vcc, s[0:1], v[3:4]
	v_or_b32_e32 v3, s4, v33
	v_mov_b32_e32 v4, s5
	v_cmp_gt_u64_e64 s[0:1], s[20:21], v[3:4]
	v_lshlrev_b64 v[28:29], 4, v[1:2]
	s_or_b64 s[0:1], vcc, s[0:1]
	v_add_u32_e32 v31, 56, v30
	s_and_saveexec_b64 s[2:3], s[0:1]
	s_cbranch_execz .LBB0_13
; %bb.12:
	v_mad_u64_u32 v[1:2], s[6:7], s10, v33, 0
	v_mad_u64_u32 v[3:4], s[6:7], s8, v30, 0
	v_mad_u64_u32 v[5:6], s[6:7], s11, v33, v[2:3]
	v_mov_b32_e32 v2, v4
	v_mad_u64_u32 v[6:7], s[6:7], s9, v30, v[2:3]
	v_mov_b32_e32 v2, v5
	v_mov_b32_e32 v5, s17
	v_add_co_u32_e32 v7, vcc, s16, v28
	v_mov_b32_e32 v4, v6
	v_addc_co_u32_e32 v8, vcc, v5, v29, vcc
	v_mad_u64_u32 v[5:6], s[6:7], s8, v32, 0
	v_lshlrev_b64 v[1:2], 4, v[1:2]
	v_add_co_u32_e32 v19, vcc, v7, v1
	v_addc_co_u32_e32 v20, vcc, v8, v2, vcc
	v_lshlrev_b64 v[1:2], 4, v[3:4]
	v_mov_b32_e32 v3, v6
	v_mad_u64_u32 v[3:4], s[6:7], s9, v32, v[3:4]
	v_mad_u64_u32 v[7:8], s[6:7], s8, v31, 0
	v_mov_b32_e32 v6, v3
	v_add_co_u32_e32 v9, vcc, v19, v1
	v_mov_b32_e32 v3, v8
	v_mad_u64_u32 v[3:4], s[6:7], s9, v31, v[3:4]
	v_add_u32_e32 v4, 0x54, v30
	v_mad_u64_u32 v[11:12], s[6:7], s8, v4, 0
	v_addc_co_u32_e32 v10, vcc, v20, v2, vcc
	v_lshlrev_b64 v[1:2], 4, v[5:6]
	v_mov_b32_e32 v8, v3
	v_mov_b32_e32 v3, v12
	v_mad_u64_u32 v[15:16], s[6:7], s9, v4, v[3:4]
	v_add_co_u32_e32 v13, vcc, v19, v1
	v_addc_co_u32_e32 v14, vcc, v20, v2, vcc
	v_lshlrev_b64 v[1:2], 4, v[7:8]
	v_mov_b32_e32 v12, v15
	v_add_co_u32_e32 v17, vcc, v19, v1
	v_addc_co_u32_e32 v18, vcc, v20, v2, vcc
	global_load_dwordx4 v[1:4], v[9:10], off
	global_load_dwordx4 v[5:8], v[13:14], off
	v_lshlrev_b64 v[9:10], 4, v[11:12]
	v_add_co_u32_e32 v19, vcc, v19, v9
	v_addc_co_u32_e32 v20, vcc, v20, v10, vcc
	global_load_dwordx4 v[9:12], v[17:18], off
	global_load_dwordx4 v[13:16], v[19:20], off
	v_mul_u32_u24_e32 v17, 0x700, v33
	v_add3_u32 v17, 0, v17, v34
	s_waitcnt vmcnt(3)
	ds_write_b128 v17, v[1:4]
	s_waitcnt vmcnt(2)
	ds_write_b128 v17, v[5:8] offset:448
	s_waitcnt vmcnt(1)
	ds_write_b128 v17, v[9:12] offset:896
	;; [unrolled: 2-line block ×3, first 2 shown]
.LBB0_13:
	s_or_b64 exec, exec, s[2:3]
	v_lshrrev_b16_e32 v1, 2, v0
	v_mul_u32_u24_e32 v1, 0x4925, v1
	v_lshrrev_b32_e32 v38, 17, v1
	v_and_b32_e32 v1, 15, v38
	v_mul_lo_u16_e32 v2, 28, v38
	v_mul_lo_u16_e32 v1, 0x70, v1
	v_sub_u16_e32 v36, v0, v2
	v_lshlrev_b32_e32 v39, 4, v1
	v_lshlrev_b32_e32 v0, 4, v36
	v_add3_u32 v35, 0, v0, v39
	s_waitcnt lgkmcnt(0)
	s_barrier
	v_add3_u32 v37, 0, v39, v0
	ds_read_b128 v[0:3], v35 offset:896
	ds_read_b128 v[4:7], v37
	ds_read_b128 v[8:11], v35 offset:448
	ds_read_b128 v[12:15], v35 offset:1344
	v_cmp_gt_u16_e32 vcc, 16, v36
	s_waitcnt lgkmcnt(0)
	v_add_f64 v[0:1], v[4:5], -v[0:1]
	v_add_f64 v[2:3], v[6:7], -v[2:3]
	v_add_f64 v[12:13], v[8:9], -v[12:13]
	v_add_f64 v[14:15], v[10:11], -v[14:15]
	s_barrier
	s_waitcnt lgkmcnt(0)
                                        ; implicit-def: $vgpr22_vgpr23
	v_fma_f64 v[16:17], v[4:5], 2.0, -v[0:1]
	v_fma_f64 v[18:19], v[6:7], 2.0, -v[2:3]
	;; [unrolled: 1-line block ×4, first 2 shown]
	v_add_f64 v[24:25], v[0:1], -v[14:15]
	v_add_f64 v[26:27], v[2:3], v[12:13]
	v_mad_u32_u24 v12, v36, 48, v35
                                        ; implicit-def: $vgpr14_vgpr15
	v_add_f64 v[8:9], v[16:17], -v[4:5]
	v_add_f64 v[10:11], v[18:19], -v[6:7]
	v_fma_f64 v[4:5], v[0:1], 2.0, -v[24:25]
	v_fma_f64 v[6:7], v[2:3], 2.0, -v[26:27]
	;; [unrolled: 1-line block ×4, first 2 shown]
	ds_write_b128 v12, v[24:27] offset:48
	ds_write_b128 v12, v[4:7] offset:16
	;; [unrolled: 1-line block ×3, first 2 shown]
	ds_write_b128 v12, v[0:3]
	s_waitcnt lgkmcnt(0)
	s_barrier
	s_waitcnt lgkmcnt(0)
                                        ; implicit-def: $vgpr18_vgpr19
	s_and_saveexec_b64 s[2:3], vcc
	s_cbranch_execz .LBB0_15
; %bb.14:
	ds_read_b128 v[0:3], v37
	ds_read_b128 v[4:7], v35 offset:256
	ds_read_b128 v[8:11], v35 offset:512
	;; [unrolled: 1-line block ×6, first 2 shown]
.LBB0_15:
	s_or_b64 exec, exec, s[2:3]
	s_waitcnt lgkmcnt(0)
	s_barrier
	s_and_saveexec_b64 s[2:3], vcc
	s_cbranch_execz .LBB0_17
; %bb.16:
	v_and_b32_e32 v40, 3, v36
	v_mul_u32_u24_e32 v41, 6, v40
	v_lshlrev_b32_e32 v47, 4, v41
	global_load_dwordx4 v[41:44], v47, s[18:19] offset:32
	s_mov_b32 s6, 0xe976ee23
	s_mov_b32 s7, 0xbfe11646
	s_mov_b32 s15, 0x3fd5d0dc
	s_mov_b32 s14, 0xb247c609
	s_mov_b32 s21, 0xbfe77f67
	s_mov_b32 s20, 0x5476071b
	v_lshrrev_b32_e32 v57, 2, v36
	s_waitcnt vmcnt(0)
	v_mul_f64 v[45:46], v[26:27], v[43:44]
	v_fma_f64 v[45:46], v[24:25], v[41:42], -v[45:46]
	v_mul_f64 v[24:25], v[24:25], v[43:44]
	v_fma_f64 v[41:42], v[26:27], v[41:42], v[24:25]
	global_load_dwordx4 v[24:27], v47, s[18:19] offset:16
	s_waitcnt vmcnt(0)
	v_mul_f64 v[43:44], v[10:11], v[26:27]
	v_fma_f64 v[43:44], v[8:9], v[24:25], -v[43:44]
	v_mul_f64 v[8:9], v[8:9], v[26:27]
	v_fma_f64 v[24:25], v[10:11], v[24:25], v[8:9]
	global_load_dwordx4 v[8:11], v47, s[18:19] offset:64
	s_waitcnt vmcnt(0)
	v_mul_f64 v[26:27], v[22:23], v[10:11]
	v_mul_f64 v[10:11], v[20:21], v[10:11]
	v_fma_f64 v[26:27], v[20:21], v[8:9], -v[26:27]
	v_fma_f64 v[20:21], v[22:23], v[8:9], v[10:11]
	global_load_dwordx4 v[8:11], v47, s[18:19]
	v_add_f64 v[49:50], v[43:44], v[26:27]
	v_add_f64 v[26:27], v[43:44], -v[26:27]
	s_waitcnt vmcnt(0)
	v_mul_f64 v[22:23], v[6:7], v[10:11]
	v_fma_f64 v[22:23], v[4:5], v[8:9], -v[22:23]
	v_mul_f64 v[4:5], v[4:5], v[10:11]
	v_fma_f64 v[8:9], v[6:7], v[8:9], v[4:5]
	global_load_dwordx4 v[4:7], v47, s[18:19] offset:80
	s_waitcnt vmcnt(0)
	v_mul_f64 v[10:11], v[18:19], v[6:7]
	v_mul_f64 v[6:7], v[16:17], v[6:7]
	v_fma_f64 v[10:11], v[16:17], v[4:5], -v[10:11]
	v_fma_f64 v[16:17], v[18:19], v[4:5], v[6:7]
	global_load_dwordx4 v[4:7], v47, s[18:19] offset:48
	v_add_f64 v[51:52], v[22:23], v[10:11]
	v_add_f64 v[10:11], v[22:23], -v[10:11]
	v_add_f64 v[55:56], v[49:50], v[51:52]
	s_waitcnt vmcnt(0)
	v_mul_f64 v[18:19], v[14:15], v[6:7]
	v_mul_f64 v[6:7], v[12:13], v[6:7]
	v_fma_f64 v[18:19], v[12:13], v[4:5], -v[18:19]
	v_fma_f64 v[4:5], v[14:15], v[4:5], v[6:7]
	v_add_f64 v[6:7], v[24:25], v[20:21]
	v_add_f64 v[20:21], v[24:25], -v[20:21]
	v_add_f64 v[12:13], v[8:9], v[16:17]
	v_add_f64 v[8:9], v[8:9], -v[16:17]
	v_add_f64 v[24:25], v[49:50], -v[51:52]
	v_add_f64 v[53:54], v[45:46], v[18:19]
	v_add_f64 v[18:19], v[18:19], -v[45:46]
	v_add_f64 v[14:15], v[41:42], v[4:5]
	;; [unrolled: 2-line block ×4, first 2 shown]
	v_add_f64 v[43:44], v[18:19], -v[26:27]
	v_add_f64 v[18:19], v[10:11], -v[18:19]
	;; [unrolled: 1-line block ×4, first 2 shown]
	v_add_f64 v[47:48], v[14:15], v[47:48]
	v_add_f64 v[16:17], v[14:15], -v[6:7]
	v_add_f64 v[14:15], v[12:13], -v[14:15]
	v_add_f64 v[10:11], v[41:42], v[10:11]
	v_add_f64 v[41:42], v[4:5], v[20:21]
	v_add_f64 v[4:5], v[8:9], -v[4:5]
	v_add_f64 v[20:21], v[20:21], -v[8:9]
	;; [unrolled: 1-line block ×4, first 2 shown]
	v_add_f64 v[55:56], v[53:54], v[55:56]
	v_add_f64 v[2:3], v[2:3], v[47:48]
	v_add_f64 v[8:9], v[41:42], v[8:9]
	v_mul_f64 v[41:42], v[43:44], s[6:7]
	v_mul_f64 v[43:44], v[45:46], s[6:7]
	s_mov_b32 s6, 0x429ad128
	s_mov_b32 s7, 0x3febfeb5
	v_mul_f64 v[45:46], v[26:27], s[6:7]
	v_add_f64 v[0:1], v[0:1], v[55:56]
	v_fma_f64 v[26:27], v[26:27], s[6:7], -v[41:42]
	v_fma_f64 v[49:50], v[4:5], s[14:15], v[43:44]
	v_fma_f64 v[43:44], v[20:21], s[6:7], -v[43:44]
	v_mul_f64 v[20:21], v[20:21], s[6:7]
	v_fma_f64 v[41:42], v[18:19], s[14:15], v[41:42]
	s_mov_b32 s15, 0xbfd5d0dc
	v_fma_f64 v[18:19], v[18:19], s[14:15], -v[45:46]
	s_mov_b32 s6, 0x36b3c0b5
	s_mov_b32 s7, 0x3fac98ee
	v_fma_f64 v[4:5], v[4:5], s[14:15], -v[20:21]
	s_mov_b32 s14, 0x37e14327
	s_mov_b32 s15, 0x3fe948f6
	v_mul_f64 v[20:21], v[22:23], s[14:15]
	v_mul_f64 v[14:15], v[14:15], s[14:15]
	;; [unrolled: 1-line block ×3, first 2 shown]
	s_mov_b32 s14, 0xaaaaaaaa
	s_mov_b32 s15, 0xbff2aaaa
	v_fma_f64 v[45:46], v[24:25], s[20:21], -v[20:21]
	v_fma_f64 v[20:21], v[12:13], s[6:7], v[20:21]
	v_mul_f64 v[12:13], v[12:13], s[6:7]
	v_fma_f64 v[16:17], v[16:17], s[6:7], v[14:15]
	s_mov_b32 s6, 0x37c3f68c
	v_fma_f64 v[14:15], v[6:7], s[20:21], -v[14:15]
	s_mov_b32 s21, 0x3fe77f67
	s_mov_b32 s7, 0x3fdc38aa
	v_fma_f64 v[6:7], v[6:7], s[20:21], -v[22:23]
	v_fma_f64 v[22:23], v[10:11], s[6:7], v[26:27]
	v_fma_f64 v[12:13], v[24:25], s[20:21], -v[12:13]
	v_fma_f64 v[24:25], v[10:11], s[6:7], v[41:42]
	v_fma_f64 v[18:19], v[10:11], s[6:7], v[18:19]
	;; [unrolled: 1-line block ×7, first 2 shown]
	v_add_f64 v[47:48], v[6:7], v[10:11]
	v_add_f64 v[53:54], v[16:17], v[10:11]
	;; [unrolled: 1-line block ×6, first 2 shown]
	v_mul_u32_u24_e32 v26, 28, v57
	v_or_b32_e32 v26, v26, v40
	v_add_f64 v[6:7], v[47:48], -v[22:23]
	v_add_f64 v[10:11], v[22:23], v[47:48]
	v_add_f64 v[22:23], v[53:54], -v[24:25]
	v_add_f64 v[20:21], v[41:42], v[55:56]
	v_add_f64 v[14:15], v[18:19], v[51:52]
	v_add_f64 v[18:19], v[51:52], -v[18:19]
	v_add_f64 v[16:17], v[49:50], v[45:46]
	v_add_f64 v[8:9], v[12:13], -v[43:44]
	;; [unrolled: 2-line block ×3, first 2 shown]
	v_lshlrev_b32_e32 v40, 4, v26
	v_add_f64 v[26:27], v[24:25], v[53:54]
	v_add_f64 v[24:25], v[55:56], -v[41:42]
	v_add3_u32 v39, 0, v40, v39
	ds_write_b128 v39, v[0:3]
	ds_write_b128 v39, v[20:23] offset:64
	ds_write_b128 v39, v[16:19] offset:128
	;; [unrolled: 1-line block ×6, first 2 shown]
.LBB0_17:
	s_or_b64 exec, exec, s[2:3]
	v_mul_u32_u24_e32 v17, 3, v36
	v_lshlrev_b32_e32 v25, 4, v17
	v_add_u32_sdwa v16, s4, v38 dst_sel:DWORD dst_unused:UNUSED_PAD src0_sel:DWORD src1_sel:WORD_0
	s_waitcnt lgkmcnt(0)
	s_barrier
	ds_read_b128 v[0:3], v37
	ds_read_b128 v[4:7], v35 offset:448
	ds_read_b128 v[8:11], v35 offset:896
	;; [unrolled: 1-line block ×3, first 2 shown]
	global_load_dwordx4 v[17:20], v25, s[18:19] offset:416
	global_load_dwordx4 v[21:24], v25, s[18:19] offset:400
	global_load_dwordx4 v[37:40], v25, s[18:19] offset:384
	v_mov_b32_e32 v27, 4
	s_waitcnt vmcnt(0) lgkmcnt(2)
	v_mul_f64 v[25:26], v[6:7], v[39:40]
	v_fma_f64 v[25:26], v[4:5], v[37:38], -v[25:26]
	v_mul_f64 v[4:5], v[4:5], v[39:40]
	v_mov_b32_e32 v39, 0x1000
	v_fma_f64 v[4:5], v[6:7], v[37:38], v[4:5]
	s_waitcnt lgkmcnt(1)
	v_mul_f64 v[6:7], v[10:11], v[23:24]
	v_fma_f64 v[6:7], v[8:9], v[21:22], -v[6:7]
	v_mul_f64 v[8:9], v[8:9], v[23:24]
	v_add_f64 v[6:7], v[0:1], -v[6:7]
	v_fma_f64 v[8:9], v[10:11], v[21:22], v[8:9]
	s_waitcnt lgkmcnt(0)
	v_mul_f64 v[10:11], v[14:15], v[19:20]
	v_fma_f64 v[0:1], v[0:1], 2.0, -v[6:7]
	v_add_f64 v[8:9], v[2:3], -v[8:9]
	v_fma_f64 v[10:11], v[12:13], v[17:18], -v[10:11]
	v_mul_f64 v[12:13], v[12:13], v[19:20]
	v_fma_f64 v[2:3], v[2:3], 2.0, -v[8:9]
	v_add_f64 v[10:11], v[25:26], -v[10:11]
	v_fma_f64 v[12:13], v[14:15], v[17:18], v[12:13]
	v_fma_f64 v[14:15], v[25:26], 2.0, -v[10:11]
	v_add_f64 v[12:13], v[4:5], -v[12:13]
	v_add_f64 v[21:22], v[0:1], -v[14:15]
	v_fma_f64 v[4:5], v[4:5], 2.0, -v[12:13]
	v_add_f64 v[14:15], v[6:7], -v[12:13]
	v_add_f64 v[12:13], v[8:9], v[10:11]
	v_fma_f64 v[17:18], v[0:1], 2.0, -v[21:22]
	v_add_f64 v[23:24], v[2:3], -v[4:5]
	v_mul_lo_u32 v4, v16, v36
	v_fma_f64 v[25:26], v[6:7], 2.0, -v[14:15]
	v_fma_f64 v[37:38], v[8:9], 2.0, -v[12:13]
	v_lshlrev_b32_sdwa v0, v27, v4 dst_sel:DWORD dst_unused:UNUSED_PAD src0_sel:DWORD src1_sel:BYTE_0
	v_bfe_u32 v4, v4, 8, 8
	v_lshl_or_b32 v4, v4, 4, v39
	v_fma_f64 v[19:20], v[2:3], 2.0, -v[23:24]
	global_load_dwordx4 v[0:3], v0, s[12:13]
	s_nop 0
	global_load_dwordx4 v[4:7], v4, s[12:13]
	s_waitcnt vmcnt(0)
	v_mul_f64 v[8:9], v[2:3], v[6:7]
	v_fma_f64 v[8:9], v[0:1], v[4:5], -v[8:9]
	v_mul_f64 v[0:1], v[0:1], v[6:7]
	v_fma_f64 v[2:3], v[2:3], v[4:5], v[0:1]
	v_add_u32_e32 v4, 28, v36
	v_mul_f64 v[0:1], v[19:20], v[2:3]
	v_mul_f64 v[2:3], v[17:18], v[2:3]
	v_fma_f64 v[0:1], v[17:18], v[8:9], -v[0:1]
	v_fma_f64 v[2:3], v[19:20], v[8:9], v[2:3]
	v_mul_lo_u32 v8, v16, v4
	v_lshlrev_b32_sdwa v4, v27, v8 dst_sel:DWORD dst_unused:UNUSED_PAD src0_sel:DWORD src1_sel:BYTE_0
	v_bfe_u32 v8, v8, 8, 8
	v_lshl_or_b32 v8, v8, 4, v39
	global_load_dwordx4 v[4:7], v4, s[12:13]
	s_nop 0
	global_load_dwordx4 v[8:11], v8, s[12:13]
	s_waitcnt vmcnt(0)
	v_mul_f64 v[17:18], v[6:7], v[10:11]
	v_fma_f64 v[17:18], v[4:5], v[8:9], -v[17:18]
	v_mul_f64 v[4:5], v[4:5], v[10:11]
	v_fma_f64 v[6:7], v[6:7], v[8:9], v[4:5]
	v_add_u32_e32 v8, 56, v36
	v_mul_f64 v[4:5], v[37:38], v[6:7]
	v_mul_f64 v[6:7], v[25:26], v[6:7]
	v_fma_f64 v[4:5], v[25:26], v[17:18], -v[4:5]
	v_fma_f64 v[6:7], v[37:38], v[17:18], v[6:7]
	v_mul_lo_u32 v17, v16, v8
	v_lshlrev_b32_sdwa v8, v27, v17 dst_sel:DWORD dst_unused:UNUSED_PAD src0_sel:DWORD src1_sel:BYTE_0
	v_bfe_u32 v17, v17, 8, 8
	v_lshl_or_b32 v17, v17, 4, v39
	global_load_dwordx4 v[8:11], v8, s[12:13]
	s_nop 0
	global_load_dwordx4 v[17:20], v17, s[12:13]
	s_waitcnt vmcnt(0)
	v_mul_f64 v[25:26], v[10:11], v[19:20]
	v_fma_f64 v[25:26], v[8:9], v[17:18], -v[25:26]
	v_mul_f64 v[8:9], v[8:9], v[19:20]
	v_fma_f64 v[10:11], v[10:11], v[17:18], v[8:9]
	v_add_u32_e32 v17, 0x54, v36
	v_mul_lo_u32 v20, v16, v17
	v_lshlrev_b32_sdwa v16, v27, v20 dst_sel:DWORD dst_unused:UNUSED_PAD src0_sel:DWORD src1_sel:BYTE_0
	v_bfe_u32 v20, v20, 8, 8
	v_mul_f64 v[8:9], v[23:24], v[10:11]
	v_mul_f64 v[10:11], v[21:22], v[10:11]
	v_lshl_or_b32 v20, v20, 4, v39
	global_load_dwordx4 v[16:19], v16, s[12:13]
	v_fma_f64 v[8:9], v[21:22], v[25:26], -v[8:9]
	v_fma_f64 v[10:11], v[23:24], v[25:26], v[10:11]
	global_load_dwordx4 v[20:23], v20, s[12:13]
	s_waitcnt vmcnt(0)
	s_barrier
	v_mul_f64 v[24:25], v[18:19], v[22:23]
	v_fma_f64 v[24:25], v[16:17], v[20:21], -v[24:25]
	v_mul_f64 v[16:17], v[16:17], v[22:23]
	v_fma_f64 v[18:19], v[18:19], v[20:21], v[16:17]
	v_mul_f64 v[16:17], v[12:13], v[18:19]
	v_fma_f64 v[16:17], v[14:15], v[24:25], -v[16:17]
	v_mul_f64 v[14:15], v[14:15], v[18:19]
	v_fma_f64 v[18:19], v[12:13], v[24:25], v[14:15]
	ds_write_b128 v35, v[0:3]
	ds_write_b128 v35, v[4:7] offset:448
	ds_write_b128 v35, v[8:11] offset:896
	;; [unrolled: 1-line block ×3, first 2 shown]
	s_waitcnt lgkmcnt(0)
	s_barrier
	s_and_saveexec_b64 s[2:3], s[0:1]
	s_cbranch_execz .LBB0_19
; %bb.18:
	v_mad_u64_u32 v[4:5], s[0:1], s10, v33, 0
	v_mad_u64_u32 v[6:7], s[0:1], s8, v30, 0
	v_mov_b32_e32 v0, v5
	v_mad_u64_u32 v[0:1], s[0:1], s11, v33, v[0:1]
	v_mov_b32_e32 v1, v7
	;; [unrolled: 2-line block ×3, first 2 shown]
	v_add_co_u32_e32 v10, vcc, s16, v28
	v_mov_b32_e32 v5, v0
	v_addc_co_u32_e32 v11, vcc, v8, v29, vcc
	v_mad_u64_u32 v[8:9], s[0:1], s8, v32, 0
	v_lshlrev_b64 v[4:5], 4, v[4:5]
	v_mul_u32_u24_e32 v0, 0x700, v33
	v_mov_b32_e32 v7, v1
	v_add3_u32 v13, 0, v0, v34
	v_add_co_u32_e32 v14, vcc, v10, v4
	ds_read_b128 v[0:3], v13
	v_addc_co_u32_e32 v15, vcc, v11, v5, vcc
	v_lshlrev_b64 v[4:5], 4, v[6:7]
	v_mov_b32_e32 v6, v9
	v_mad_u64_u32 v[9:10], s[0:1], s9, v32, v[6:7]
	v_add_co_u32_e32 v10, vcc, v14, v4
	v_addc_co_u32_e32 v11, vcc, v15, v5, vcc
	ds_read_b128 v[4:7], v13 offset:448
	s_waitcnt lgkmcnt(1)
	global_store_dwordx4 v[10:11], v[0:3], off
	s_nop 0
	v_lshlrev_b64 v[0:1], 4, v[8:9]
	v_mad_u64_u32 v[8:9], s[0:1], s8, v31, 0
	v_add_co_u32_e32 v0, vcc, v14, v0
	v_addc_co_u32_e32 v1, vcc, v15, v1, vcc
	s_waitcnt lgkmcnt(0)
	global_store_dwordx4 v[0:1], v[4:7], off
	v_mov_b32_e32 v0, v9
	v_add_u32_e32 v7, 0x54, v30
	v_mad_u64_u32 v[0:1], s[0:1], s9, v31, v[0:1]
	v_mad_u64_u32 v[10:11], s[0:1], s8, v7, 0
	v_mov_b32_e32 v9, v0
	ds_read_b128 v[0:3], v13 offset:896
	v_mov_b32_e32 v6, v11
	v_lshlrev_b64 v[4:5], 4, v[8:9]
	v_mad_u64_u32 v[8:9], s[0:1], s9, v7, v[6:7]
	v_add_co_u32_e32 v11, vcc, v14, v4
	v_addc_co_u32_e32 v12, vcc, v15, v5, vcc
	ds_read_b128 v[4:7], v13 offset:1344
	s_waitcnt lgkmcnt(1)
	global_store_dwordx4 v[11:12], v[0:3], off
	v_mov_b32_e32 v11, v8
	v_lshlrev_b64 v[0:1], 4, v[10:11]
	v_add_co_u32_e32 v0, vcc, v14, v0
	v_addc_co_u32_e32 v1, vcc, v15, v1, vcc
	s_waitcnt lgkmcnt(0)
	global_store_dwordx4 v[0:1], v[4:7], off
.LBB0_19:
	s_endpgm
	.section	.rodata,"a",@progbits
	.p2align	6, 0x0
	.amdhsa_kernel fft_rtc_fwd_len112_factors_4_7_4_wgs_448_tpt_28_dp_ip_CI_sbcc_twdbase8_2step
		.amdhsa_group_segment_fixed_size 0
		.amdhsa_private_segment_fixed_size 0
		.amdhsa_kernarg_size 96
		.amdhsa_user_sgpr_count 6
		.amdhsa_user_sgpr_private_segment_buffer 1
		.amdhsa_user_sgpr_dispatch_ptr 0
		.amdhsa_user_sgpr_queue_ptr 0
		.amdhsa_user_sgpr_kernarg_segment_ptr 1
		.amdhsa_user_sgpr_dispatch_id 0
		.amdhsa_user_sgpr_flat_scratch_init 0
		.amdhsa_user_sgpr_private_segment_size 0
		.amdhsa_uses_dynamic_stack 0
		.amdhsa_system_sgpr_private_segment_wavefront_offset 0
		.amdhsa_system_sgpr_workgroup_id_x 1
		.amdhsa_system_sgpr_workgroup_id_y 0
		.amdhsa_system_sgpr_workgroup_id_z 0
		.amdhsa_system_sgpr_workgroup_info 0
		.amdhsa_system_vgpr_workitem_id 0
		.amdhsa_next_free_vgpr 58
		.amdhsa_next_free_sgpr 43
		.amdhsa_reserve_vcc 1
		.amdhsa_reserve_flat_scratch 0
		.amdhsa_float_round_mode_32 0
		.amdhsa_float_round_mode_16_64 0
		.amdhsa_float_denorm_mode_32 3
		.amdhsa_float_denorm_mode_16_64 3
		.amdhsa_dx10_clamp 1
		.amdhsa_ieee_mode 1
		.amdhsa_fp16_overflow 0
		.amdhsa_exception_fp_ieee_invalid_op 0
		.amdhsa_exception_fp_denorm_src 0
		.amdhsa_exception_fp_ieee_div_zero 0
		.amdhsa_exception_fp_ieee_overflow 0
		.amdhsa_exception_fp_ieee_underflow 0
		.amdhsa_exception_fp_ieee_inexact 0
		.amdhsa_exception_int_div_zero 0
	.end_amdhsa_kernel
	.text
.Lfunc_end0:
	.size	fft_rtc_fwd_len112_factors_4_7_4_wgs_448_tpt_28_dp_ip_CI_sbcc_twdbase8_2step, .Lfunc_end0-fft_rtc_fwd_len112_factors_4_7_4_wgs_448_tpt_28_dp_ip_CI_sbcc_twdbase8_2step
                                        ; -- End function
	.section	.AMDGPU.csdata,"",@progbits
; Kernel info:
; codeLenInByte = 4336
; NumSgprs: 47
; NumVgprs: 58
; ScratchSize: 0
; MemoryBound: 0
; FloatMode: 240
; IeeeMode: 1
; LDSByteSize: 0 bytes/workgroup (compile time only)
; SGPRBlocks: 5
; VGPRBlocks: 14
; NumSGPRsForWavesPerEU: 47
; NumVGPRsForWavesPerEU: 58
; Occupancy: 4
; WaveLimiterHint : 1
; COMPUTE_PGM_RSRC2:SCRATCH_EN: 0
; COMPUTE_PGM_RSRC2:USER_SGPR: 6
; COMPUTE_PGM_RSRC2:TRAP_HANDLER: 0
; COMPUTE_PGM_RSRC2:TGID_X_EN: 1
; COMPUTE_PGM_RSRC2:TGID_Y_EN: 0
; COMPUTE_PGM_RSRC2:TGID_Z_EN: 0
; COMPUTE_PGM_RSRC2:TIDIG_COMP_CNT: 0
	.type	__hip_cuid_6145d294b1cd07ef,@object ; @__hip_cuid_6145d294b1cd07ef
	.section	.bss,"aw",@nobits
	.globl	__hip_cuid_6145d294b1cd07ef
__hip_cuid_6145d294b1cd07ef:
	.byte	0                               ; 0x0
	.size	__hip_cuid_6145d294b1cd07ef, 1

	.ident	"AMD clang version 19.0.0git (https://github.com/RadeonOpenCompute/llvm-project roc-6.4.0 25133 c7fe45cf4b819c5991fe208aaa96edf142730f1d)"
	.section	".note.GNU-stack","",@progbits
	.addrsig
	.addrsig_sym __hip_cuid_6145d294b1cd07ef
	.amdgpu_metadata
---
amdhsa.kernels:
  - .args:
      - .actual_access:  read_only
        .address_space:  global
        .offset:         0
        .size:           8
        .value_kind:     global_buffer
      - .address_space:  global
        .offset:         8
        .size:           8
        .value_kind:     global_buffer
      - .offset:         16
        .size:           8
        .value_kind:     by_value
      - .actual_access:  read_only
        .address_space:  global
        .offset:         24
        .size:           8
        .value_kind:     global_buffer
      - .actual_access:  read_only
        .address_space:  global
        .offset:         32
        .size:           8
        .value_kind:     global_buffer
      - .offset:         40
        .size:           8
        .value_kind:     by_value
      - .actual_access:  read_only
        .address_space:  global
        .offset:         48
        .size:           8
        .value_kind:     global_buffer
      - .actual_access:  read_only
        .address_space:  global
        .offset:         56
        .size:           8
        .value_kind:     global_buffer
      - .offset:         64
        .size:           4
        .value_kind:     by_value
      - .actual_access:  read_only
        .address_space:  global
        .offset:         72
        .size:           8
        .value_kind:     global_buffer
      - .actual_access:  read_only
        .address_space:  global
        .offset:         80
        .size:           8
        .value_kind:     global_buffer
      - .address_space:  global
        .offset:         88
        .size:           8
        .value_kind:     global_buffer
    .group_segment_fixed_size: 0
    .kernarg_segment_align: 8
    .kernarg_segment_size: 96
    .language:       OpenCL C
    .language_version:
      - 2
      - 0
    .max_flat_workgroup_size: 448
    .name:           fft_rtc_fwd_len112_factors_4_7_4_wgs_448_tpt_28_dp_ip_CI_sbcc_twdbase8_2step
    .private_segment_fixed_size: 0
    .sgpr_count:     47
    .sgpr_spill_count: 0
    .symbol:         fft_rtc_fwd_len112_factors_4_7_4_wgs_448_tpt_28_dp_ip_CI_sbcc_twdbase8_2step.kd
    .uniform_work_group_size: 1
    .uses_dynamic_stack: false
    .vgpr_count:     58
    .vgpr_spill_count: 0
    .wavefront_size: 64
amdhsa.target:   amdgcn-amd-amdhsa--gfx906
amdhsa.version:
  - 1
  - 2
...

	.end_amdgpu_metadata
